;; amdgpu-corpus repo=ROCm/rocFFT kind=compiled arch=gfx1201 opt=O3
	.text
	.amdgcn_target "amdgcn-amd-amdhsa--gfx1201"
	.amdhsa_code_object_version 6
	.protected	fft_rtc_back_len100_factors_5_5_4_wgs_200_tpt_25_halfLds_dp_ip_CI_sbcc_twdbase6_3step_dirReg ; -- Begin function fft_rtc_back_len100_factors_5_5_4_wgs_200_tpt_25_halfLds_dp_ip_CI_sbcc_twdbase6_3step_dirReg
	.globl	fft_rtc_back_len100_factors_5_5_4_wgs_200_tpt_25_halfLds_dp_ip_CI_sbcc_twdbase6_3step_dirReg
	.p2align	8
	.type	fft_rtc_back_len100_factors_5_5_4_wgs_200_tpt_25_halfLds_dp_ip_CI_sbcc_twdbase6_3step_dirReg,@function
fft_rtc_back_len100_factors_5_5_4_wgs_200_tpt_25_halfLds_dp_ip_CI_sbcc_twdbase6_3step_dirReg: ; @fft_rtc_back_len100_factors_5_5_4_wgs_200_tpt_25_halfLds_dp_ip_CI_sbcc_twdbase6_3step_dirReg
; %bb.0:
	s_load_b256 s[4:11], s[0:1], 0x8
	s_mov_b32 s2, ttmp9
	s_mov_b32 s3, exec_lo
	v_cmpx_gt_u32_e32 0xc0, v0
	s_cbranch_execz .LBB0_2
; %bb.1:
	v_lshlrev_b32_e32 v5, 4, v0
	s_wait_kmcnt 0x0
	global_load_b128 v[1:4], v5, s[4:5]
	v_add3_u32 v5, 0, v5, 0x1900
	s_wait_loadcnt 0x0
	ds_store_2addr_b64 v5, v[1:2], v[3:4] offset1:1
.LBB0_2:
	s_or_b32 exec_lo, exec_lo, s3
	s_wait_kmcnt 0x0
	s_load_b64 s[18:19], s[8:9], 0x8
	s_mov_b32 s3, 0
	s_mov_b64 s[24:25], 0
	s_wait_kmcnt 0x0
	s_add_nc_u64 s[4:5], s[18:19], -1
	s_delay_alu instid0(SALU_CYCLE_1) | instskip(NEXT) | instid1(SALU_CYCLE_1)
	s_lshr_b64 s[4:5], s[4:5], 3
	s_add_nc_u64 s[4:5], s[4:5], 1
	s_delay_alu instid0(SALU_CYCLE_1) | instskip(NEXT) | instid1(VALU_DEP_1)
	v_cmp_lt_u64_e64 s12, s[2:3], s[4:5]
	s_and_b32 vcc_lo, exec_lo, s12
	s_cbranch_vccnz .LBB0_4
; %bb.3:
	v_cvt_f32_u32_e32 v1, s4
	s_sub_co_i32 s13, 0, s4
	s_mov_b32 s25, s3
	s_delay_alu instid0(VALU_DEP_1) | instskip(NEXT) | instid1(TRANS32_DEP_1)
	v_rcp_iflag_f32_e32 v1, v1
	v_mul_f32_e32 v1, 0x4f7ffffe, v1
	s_delay_alu instid0(VALU_DEP_1) | instskip(NEXT) | instid1(VALU_DEP_1)
	v_cvt_u32_f32_e32 v1, v1
	v_readfirstlane_b32 s12, v1
	s_delay_alu instid0(VALU_DEP_1) | instskip(NEXT) | instid1(SALU_CYCLE_1)
	s_mul_i32 s13, s13, s12
	s_mul_hi_u32 s13, s12, s13
	s_delay_alu instid0(SALU_CYCLE_1) | instskip(NEXT) | instid1(SALU_CYCLE_1)
	s_add_co_i32 s12, s12, s13
	s_mul_hi_u32 s12, s2, s12
	s_delay_alu instid0(SALU_CYCLE_1) | instskip(SKIP_2) | instid1(SALU_CYCLE_1)
	s_mul_i32 s13, s12, s4
	s_add_co_i32 s14, s12, 1
	s_sub_co_i32 s13, s2, s13
	s_sub_co_i32 s15, s13, s4
	s_cmp_ge_u32 s13, s4
	s_cselect_b32 s12, s14, s12
	s_cselect_b32 s13, s15, s13
	s_add_co_i32 s14, s12, 1
	s_cmp_ge_u32 s13, s4
	s_cselect_b32 s24, s14, s12
.LBB0_4:
	s_load_b128 s[12:15], s[10:11], 0x0
	s_load_b64 s[16:17], s[0:1], 0x0
	v_cmp_lt_u64_e64 s22, s[6:7], 3
	s_mul_u64 s[20:21], s[24:25], s[4:5]
	s_delay_alu instid0(SALU_CYCLE_1) | instskip(NEXT) | instid1(SALU_CYCLE_1)
	s_sub_nc_u64 s[20:21], s[2:3], s[20:21]
	s_lshl_b64 s[20:21], s[20:21], 3
	s_delay_alu instid0(VALU_DEP_1)
	s_and_b32 vcc_lo, exec_lo, s22
	s_wait_kmcnt 0x0
	s_mul_u64 s[22:23], s[14:15], s[20:21]
	s_cbranch_vccnz .LBB0_14
; %bb.5:
	s_add_nc_u64 s[26:27], s[10:11], 16
	s_add_nc_u64 s[8:9], s[8:9], 16
	s_mov_b64 s[28:29], 2
	s_mov_b32 s30, 0
.LBB0_6:                                ; =>This Inner Loop Header: Depth=1
	s_load_b64 s[34:35], s[8:9], 0x0
                                        ; implicit-def: $sgpr38_sgpr39
	s_wait_kmcnt 0x0
	s_or_b64 s[36:37], s[24:25], s[34:35]
	s_delay_alu instid0(SALU_CYCLE_1)
	s_mov_b32 s31, s37
	s_mov_b32 s37, -1
	s_wait_alu 0xfffe
	s_cmp_lg_u64 s[30:31], 0
	s_cbranch_scc0 .LBB0_8
; %bb.7:                                ;   in Loop: Header=BB0_6 Depth=1
	s_cvt_f32_u32 s31, s34
	s_cvt_f32_u32 s33, s35
	s_sub_nc_u64 s[40:41], 0, s[34:35]
	s_mov_b32 s37, 0
	s_mov_b32 s45, s30
	s_wait_alu 0xfffe
	s_fmamk_f32 s31, s33, 0x4f800000, s31
	s_wait_alu 0xfffe
	s_delay_alu instid0(SALU_CYCLE_2) | instskip(NEXT) | instid1(TRANS32_DEP_1)
	v_s_rcp_f32 s31, s31
	s_mul_f32 s31, s31, 0x5f7ffffc
	s_wait_alu 0xfffe
	s_delay_alu instid0(SALU_CYCLE_2) | instskip(NEXT) | instid1(SALU_CYCLE_3)
	s_mul_f32 s33, s31, 0x2f800000
	s_trunc_f32 s33, s33
	s_delay_alu instid0(SALU_CYCLE_3) | instskip(SKIP_2) | instid1(SALU_CYCLE_1)
	s_fmamk_f32 s31, s33, 0xcf800000, s31
	s_cvt_u32_f32 s39, s33
	s_wait_alu 0xfffe
	s_cvt_u32_f32 s38, s31
	s_wait_alu 0xfffe
	s_delay_alu instid0(SALU_CYCLE_2)
	s_mul_u64 s[42:43], s[40:41], s[38:39]
	s_wait_alu 0xfffe
	s_mul_hi_u32 s47, s38, s43
	s_mul_i32 s46, s38, s43
	s_mul_hi_u32 s36, s38, s42
	s_mul_i32 s33, s39, s42
	s_add_nc_u64 s[46:47], s[36:37], s[46:47]
	s_mul_hi_u32 s31, s39, s42
	s_mul_hi_u32 s48, s39, s43
	s_add_co_u32 s33, s46, s33
	s_wait_alu 0xfffe
	s_add_co_ci_u32 s44, s47, s31
	s_mul_i32 s42, s39, s43
	s_add_co_ci_u32 s43, s48, 0
	s_wait_alu 0xfffe
	s_add_nc_u64 s[42:43], s[44:45], s[42:43]
	s_wait_alu 0xfffe
	v_add_co_u32 v1, s31, s38, s42
	s_delay_alu instid0(VALU_DEP_1) | instskip(SKIP_1) | instid1(VALU_DEP_1)
	s_cmp_lg_u32 s31, 0
	s_add_co_ci_u32 s39, s39, s43
	v_readfirstlane_b32 s38, v1
	s_mov_b32 s43, s30
	s_wait_alu 0xfffe
	s_delay_alu instid0(VALU_DEP_1)
	s_mul_u64 s[40:41], s[40:41], s[38:39]
	s_wait_alu 0xfffe
	s_mul_hi_u32 s45, s38, s41
	s_mul_i32 s44, s38, s41
	s_mul_hi_u32 s36, s38, s40
	s_mul_i32 s33, s39, s40
	s_add_nc_u64 s[44:45], s[36:37], s[44:45]
	s_mul_hi_u32 s31, s39, s40
	s_mul_hi_u32 s38, s39, s41
	s_add_co_u32 s33, s44, s33
	s_wait_alu 0xfffe
	s_add_co_ci_u32 s42, s45, s31
	s_mul_i32 s40, s39, s41
	s_add_co_ci_u32 s41, s38, 0
	s_wait_alu 0xfffe
	s_add_nc_u64 s[40:41], s[42:43], s[40:41]
	s_wait_alu 0xfffe
	v_add_co_u32 v1, s31, v1, s40
	s_delay_alu instid0(VALU_DEP_1) | instskip(SKIP_1) | instid1(VALU_DEP_1)
	s_cmp_lg_u32 s31, 0
	s_add_co_ci_u32 s31, s39, s41
	v_readfirstlane_b32 s33, v1
	s_wait_alu 0xfffe
	s_mul_hi_u32 s39, s24, s31
	s_mul_i32 s38, s24, s31
	s_mul_hi_u32 s41, s25, s31
	s_mul_i32 s40, s25, s31
	;; [unrolled: 2-line block ×3, first 2 shown]
	s_wait_alu 0xfffe
	s_add_nc_u64 s[38:39], s[36:37], s[38:39]
	s_mul_hi_u32 s33, s25, s33
	s_wait_alu 0xfffe
	s_add_co_u32 s31, s38, s31
	s_add_co_ci_u32 s42, s39, s33
	s_add_co_ci_u32 s41, s41, 0
	s_wait_alu 0xfffe
	s_add_nc_u64 s[38:39], s[42:43], s[40:41]
	s_wait_alu 0xfffe
	s_mul_u64 s[40:41], s[34:35], s[38:39]
	s_add_nc_u64 s[42:43], s[38:39], 1
	s_wait_alu 0xfffe
	v_sub_co_u32 v1, s31, s24, s40
	s_sub_co_i32 s33, s25, s41
	s_cmp_lg_u32 s31, 0
	s_add_nc_u64 s[44:45], s[38:39], 2
	s_delay_alu instid0(VALU_DEP_1) | instskip(SKIP_2) | instid1(VALU_DEP_1)
	v_sub_co_u32 v2, s36, v1, s34
	s_sub_co_ci_u32 s33, s33, s35
	s_cmp_lg_u32 s36, 0
	v_readfirstlane_b32 s36, v2
	s_sub_co_ci_u32 s33, s33, 0
	s_delay_alu instid0(SALU_CYCLE_1) | instskip(SKIP_1) | instid1(VALU_DEP_1)
	s_cmp_ge_u32 s33, s35
	s_cselect_b32 s40, -1, 0
	s_cmp_ge_u32 s36, s34
	s_cselect_b32 s36, -1, 0
	s_cmp_eq_u32 s33, s35
	s_wait_alu 0xfffe
	s_cselect_b32 s33, s36, s40
	s_delay_alu instid0(SALU_CYCLE_1)
	s_cmp_lg_u32 s33, 0
	s_cselect_b32 s33, s44, s42
	s_cselect_b32 s36, s45, s43
	s_cmp_lg_u32 s31, 0
	v_readfirstlane_b32 s31, v1
	s_sub_co_ci_u32 s40, s25, s41
	s_wait_alu 0xfffe
	s_cmp_ge_u32 s40, s35
	s_cselect_b32 s41, -1, 0
	s_cmp_ge_u32 s31, s34
	s_cselect_b32 s31, -1, 0
	s_cmp_eq_u32 s40, s35
	s_wait_alu 0xfffe
	s_cselect_b32 s31, s31, s41
	s_wait_alu 0xfffe
	s_cmp_lg_u32 s31, 0
	s_cselect_b32 s39, s36, s39
	s_cselect_b32 s38, s33, s38
.LBB0_8:                                ;   in Loop: Header=BB0_6 Depth=1
	s_and_not1_b32 vcc_lo, exec_lo, s37
	s_cbranch_vccnz .LBB0_10
; %bb.9:                                ;   in Loop: Header=BB0_6 Depth=1
	v_cvt_f32_u32_e32 v1, s34
	s_sub_co_i32 s33, 0, s34
	s_mov_b32 s39, s30
	s_delay_alu instid0(VALU_DEP_1) | instskip(NEXT) | instid1(TRANS32_DEP_1)
	v_rcp_iflag_f32_e32 v1, v1
	v_mul_f32_e32 v1, 0x4f7ffffe, v1
	s_delay_alu instid0(VALU_DEP_1) | instskip(NEXT) | instid1(VALU_DEP_1)
	v_cvt_u32_f32_e32 v1, v1
	v_readfirstlane_b32 s31, v1
	s_delay_alu instid0(VALU_DEP_1) | instskip(NEXT) | instid1(SALU_CYCLE_1)
	s_mul_i32 s33, s33, s31
	s_mul_hi_u32 s33, s31, s33
	s_delay_alu instid0(SALU_CYCLE_1)
	s_add_co_i32 s31, s31, s33
	s_wait_alu 0xfffe
	s_mul_hi_u32 s31, s24, s31
	s_wait_alu 0xfffe
	s_mul_i32 s33, s31, s34
	s_add_co_i32 s36, s31, 1
	s_sub_co_i32 s33, s24, s33
	s_delay_alu instid0(SALU_CYCLE_1)
	s_sub_co_i32 s37, s33, s34
	s_cmp_ge_u32 s33, s34
	s_cselect_b32 s31, s36, s31
	s_cselect_b32 s33, s37, s33
	s_wait_alu 0xfffe
	s_add_co_i32 s36, s31, 1
	s_cmp_ge_u32 s33, s34
	s_cselect_b32 s38, s36, s31
.LBB0_10:                               ;   in Loop: Header=BB0_6 Depth=1
	s_load_b64 s[36:37], s[26:27], 0x0
	s_add_nc_u64 s[28:29], s[28:29], 1
	s_mul_u64 s[4:5], s[34:35], s[4:5]
	s_wait_alu 0xfffe
	v_cmp_ge_u64_e64 s31, s[28:29], s[6:7]
	s_mul_u64 s[34:35], s[38:39], s[34:35]
	s_add_nc_u64 s[26:27], s[26:27], 8
	s_wait_alu 0xfffe
	s_sub_nc_u64 s[24:25], s[24:25], s[34:35]
	s_add_nc_u64 s[8:9], s[8:9], 8
	s_and_b32 vcc_lo, exec_lo, s31
	s_wait_kmcnt 0x0
	s_wait_alu 0xfffe
	s_mul_u64 s[24:25], s[36:37], s[24:25]
	s_wait_alu 0xfffe
	s_add_nc_u64 s[22:23], s[24:25], s[22:23]
	s_cbranch_vccnz .LBB0_12
; %bb.11:                               ;   in Loop: Header=BB0_6 Depth=1
	s_mov_b64 s[24:25], s[38:39]
	s_branch .LBB0_6
.LBB0_12:
	v_cmp_lt_u64_e64 s3, s[2:3], s[4:5]
	s_mov_b64 s[24:25], 0
	s_delay_alu instid0(VALU_DEP_1)
	s_and_b32 vcc_lo, exec_lo, s3
	s_cbranch_vccnz .LBB0_14
; %bb.13:
	v_cvt_f32_u32_e32 v1, s4
	s_sub_co_i32 s5, 0, s4
	s_mov_b32 s25, 0
	s_delay_alu instid0(VALU_DEP_1) | instskip(NEXT) | instid1(TRANS32_DEP_1)
	v_rcp_iflag_f32_e32 v1, v1
	v_mul_f32_e32 v1, 0x4f7ffffe, v1
	s_delay_alu instid0(VALU_DEP_1) | instskip(NEXT) | instid1(VALU_DEP_1)
	v_cvt_u32_f32_e32 v1, v1
	v_readfirstlane_b32 s3, v1
	s_wait_alu 0xfffe
	s_delay_alu instid0(VALU_DEP_1)
	s_mul_i32 s5, s5, s3
	s_wait_alu 0xfffe
	s_mul_hi_u32 s5, s3, s5
	s_wait_alu 0xfffe
	s_add_co_i32 s3, s3, s5
	s_wait_alu 0xfffe
	s_mul_hi_u32 s3, s2, s3
	s_wait_alu 0xfffe
	s_mul_i32 s5, s3, s4
	s_wait_alu 0xfffe
	s_sub_co_i32 s2, s2, s5
	s_add_co_i32 s5, s3, 1
	s_wait_alu 0xfffe
	s_sub_co_i32 s8, s2, s4
	s_cmp_ge_u32 s2, s4
	s_cselect_b32 s3, s5, s3
	s_cselect_b32 s2, s8, s2
	s_wait_alu 0xfffe
	s_add_co_i32 s5, s3, 1
	s_cmp_ge_u32 s2, s4
	s_wait_alu 0xfffe
	s_cselect_b32 s24, s5, s3
.LBB0_14:
	s_load_b64 s[2:3], s[0:1], 0x58
	s_lshl_b64 s[0:1], s[6:7], 3
	v_lshrrev_b32_e32 v33, 3, v0
	s_add_nc_u64 s[0:1], s[10:11], s[0:1]
	s_add_nc_u64 s[4:5], s[20:21], 8
	s_load_b64 s[0:1], s[0:1], 0x0
	v_cmp_le_u64_e64 s6, s[4:5], s[18:19]
	v_cmp_gt_u32_e32 vcc_lo, 0xa0, v0
	v_and_b32_e32 v32, 7, v0
	v_add_nc_u32_e32 v3, 20, v33
	v_add_nc_u32_e32 v4, 40, v33
	;; [unrolled: 1-line block ×4, first 2 shown]
                                        ; implicit-def: $vgpr15_vgpr16
                                        ; implicit-def: $vgpr19_vgpr20
                                        ; implicit-def: $vgpr7_vgpr8
                                        ; implicit-def: $vgpr11_vgpr12
                                        ; implicit-def: $vgpr23_vgpr24
	s_wait_kmcnt 0x0
	s_mul_u64 s[0:1], s[0:1], s[24:25]
	s_delay_alu instid0(SALU_CYCLE_1) | instskip(SKIP_1) | instid1(SALU_CYCLE_1)
	s_add_nc_u64 s[4:5], s[0:1], s[22:23]
	s_and_b32 s0, vcc_lo, s6
	s_and_saveexec_b32 s1, s0
	s_cbranch_execz .LBB0_16
; %bb.15:
	v_mad_co_u64_u32 v[5:6], null, s14, v32, 0
	v_mad_co_u64_u32 v[7:8], null, s12, v33, 0
	;; [unrolled: 1-line block ×4, first 2 shown]
	s_wait_alu 0xfffe
	s_lshl_b64 s[8:9], s[4:5], 4
	v_mad_co_u64_u32 v[16:17], null, s12, v1, 0
	s_delay_alu instid0(VALU_DEP_4) | instskip(SKIP_3) | instid1(VALU_DEP_3)
	v_mad_co_u64_u32 v[11:12], null, s15, v32, v[6:7]
	v_mad_co_u64_u32 v[12:13], null, s12, v4, 0
	v_mad_co_u64_u32 v[18:19], null, s13, v33, v[8:9]
	s_add_nc_u64 s[8:9], s[2:3], s[8:9]
	v_mov_b32_e32 v6, v11
	v_mad_co_u64_u32 v[10:11], null, s13, v3, v[10:11]
	s_delay_alu instid0(VALU_DEP_4) | instskip(NEXT) | instid1(VALU_DEP_3)
	v_mov_b32_e32 v8, v13
	v_lshlrev_b64_e32 v[5:6], 4, v[5:6]
	s_delay_alu instid0(VALU_DEP_2) | instskip(SKIP_1) | instid1(VALU_DEP_3)
	v_mad_co_u64_u32 v[19:20], null, s13, v4, v[8:9]
	v_mov_b32_e32 v8, v18
	v_add_co_u32 v20, s0, s8, v5
	s_delay_alu instid0(VALU_DEP_1) | instskip(NEXT) | instid1(VALU_DEP_3)
	v_add_co_ci_u32_e64 v21, s0, s9, v6, s0
	v_lshlrev_b64_e32 v[6:7], 4, v[7:8]
	v_mov_b32_e32 v5, v15
	v_mov_b32_e32 v13, v19
	v_lshlrev_b64_e32 v[8:9], 4, v[9:10]
	s_delay_alu instid0(VALU_DEP_3)
	v_mad_co_u64_u32 v[18:19], null, s13, v2, v[5:6]
	v_mov_b32_e32 v5, v17
	v_add_co_u32 v6, s0, v20, v6
	s_wait_alu 0xf1ff
	v_add_co_ci_u32_e64 v7, s0, v21, v7, s0
	v_add_co_u32 v8, s0, v20, v8
	s_delay_alu instid0(VALU_DEP_3) | instskip(SKIP_4) | instid1(VALU_DEP_3)
	v_mad_co_u64_u32 v[10:11], null, s13, v1, v[5:6]
	v_mov_b32_e32 v15, v18
	v_lshlrev_b64_e32 v[11:12], 4, v[12:13]
	s_wait_alu 0xf1ff
	v_add_co_ci_u32_e64 v9, s0, v21, v9, s0
	v_lshlrev_b64_e32 v[13:14], 4, v[14:15]
	v_mov_b32_e32 v17, v10
	s_delay_alu instid0(VALU_DEP_4) | instskip(SKIP_2) | instid1(VALU_DEP_3)
	v_add_co_u32 v10, s0, v20, v11
	s_wait_alu 0xf1ff
	v_add_co_ci_u32_e64 v11, s0, v21, v12, s0
	v_lshlrev_b64_e32 v[15:16], 4, v[16:17]
	v_add_co_u32 v25, s0, v20, v13
	s_wait_alu 0xf1ff
	v_add_co_ci_u32_e64 v26, s0, v21, v14, s0
	s_delay_alu instid0(VALU_DEP_3)
	v_add_co_u32 v27, s0, v20, v15
	s_wait_alu 0xf1ff
	v_add_co_ci_u32_e64 v28, s0, v21, v16, s0
	s_clause 0x4
	global_load_b128 v[21:24], v[6:7], off
	global_load_b128 v[13:16], v[8:9], off
	;; [unrolled: 1-line block ×5, first 2 shown]
.LBB0_16:
	s_or_b32 exec_lo, exec_lo, s1
	v_mov_b32_e32 v30, s21
	v_or_b32_e32 v29, s20, v32
	s_xor_b32 s1, s6, -1
	s_delay_alu instid0(VALU_DEP_1) | instskip(NEXT) | instid1(VALU_DEP_1)
	v_cmp_gt_u64_e64 s0, s[18:19], v[29:30]
	s_and_b32 s7, vcc_lo, s0
	s_wait_alu 0xfffe
	s_and_b32 s1, s1, s7
	s_wait_alu 0xfffe
	s_and_saveexec_b32 s7, s1
	s_cbranch_execz .LBB0_18
; %bb.17:
	s_wait_loadcnt 0x0
	v_mad_co_u64_u32 v[5:6], null, s14, v32, 0
	v_mad_co_u64_u32 v[7:8], null, s12, v33, 0
	;; [unrolled: 1-line block ×5, first 2 shown]
	s_delay_alu instid0(VALU_DEP_4) | instskip(SKIP_3) | instid1(VALU_DEP_3)
	v_mad_co_u64_u32 v[11:12], null, s15, v32, v[6:7]
	v_mad_co_u64_u32 v[12:13], null, s12, v4, 0
	;; [unrolled: 1-line block ×3, first 2 shown]
	s_lshl_b64 s[8:9], s[4:5], 4
	v_mov_b32_e32 v6, v11
	v_mad_co_u64_u32 v[10:11], null, s13, v3, v[10:11]
	s_delay_alu instid0(VALU_DEP_4) | instskip(SKIP_2) | instid1(VALU_DEP_1)
	v_mov_b32_e32 v8, v13
	s_wait_alu 0xfffe
	s_add_nc_u64 s[8:9], s[2:3], s[8:9]
	v_mad_co_u64_u32 v[3:4], null, s13, v4, v[8:9]
	v_mov_b32_e32 v8, v18
	s_delay_alu instid0(VALU_DEP_2) | instskip(SKIP_2) | instid1(VALU_DEP_1)
	v_dual_mov_b32 v4, v15 :: v_dual_mov_b32 v13, v3
	v_lshlrev_b64_e32 v[5:6], 4, v[5:6]
	s_wait_alu 0xfffe
	v_add_co_u32 v18, s1, s8, v5
	s_wait_alu 0xf1ff
	s_delay_alu instid0(VALU_DEP_2) | instskip(SKIP_1) | instid1(VALU_DEP_1)
	v_add_co_ci_u32_e64 v19, s1, s9, v6, s1
	v_lshlrev_b64_e32 v[5:6], 4, v[7:8]
	v_mad_co_u64_u32 v[2:3], null, s13, v2, v[4:5]
	v_mov_b32_e32 v3, v17
	v_add_co_u32 v4, s1, v18, v5
	s_wait_alu 0xf1ff
	s_delay_alu instid0(VALU_DEP_4) | instskip(SKIP_1) | instid1(VALU_DEP_3)
	v_add_co_ci_u32_e64 v5, s1, v19, v6, s1
	v_lshlrev_b64_e32 v[6:7], 4, v[9:10]
	v_mad_co_u64_u32 v[8:9], null, s13, v1, v[3:4]
	v_lshlrev_b64_e32 v[9:10], 4, v[12:13]
	v_mov_b32_e32 v15, v2
	s_delay_alu instid0(VALU_DEP_4)
	v_add_co_u32 v1, s1, v18, v6
	s_wait_alu 0xf1ff
	v_add_co_ci_u32_e64 v2, s1, v19, v7, s1
	v_mov_b32_e32 v17, v8
	v_lshlrev_b64_e32 v[6:7], 4, v[14:15]
	v_add_co_u32 v8, s1, v18, v9
	s_wait_alu 0xf1ff
	v_add_co_ci_u32_e64 v9, s1, v19, v10, s1
	v_lshlrev_b64_e32 v[10:11], 4, v[16:17]
	s_delay_alu instid0(VALU_DEP_4) | instskip(SKIP_2) | instid1(VALU_DEP_3)
	v_add_co_u32 v6, s1, v18, v6
	s_wait_alu 0xf1ff
	v_add_co_ci_u32_e64 v7, s1, v19, v7, s1
	v_add_co_u32 v25, s1, v18, v10
	s_wait_alu 0xf1ff
	v_add_co_ci_u32_e64 v26, s1, v19, v11, s1
	s_clause 0x4
	global_load_b128 v[21:24], v[4:5], off
	global_load_b128 v[13:16], v[1:2], off
	;; [unrolled: 1-line block ×5, first 2 shown]
.LBB0_18:
	s_wait_alu 0xfffe
	s_or_b32 exec_lo, exec_lo, s7
	s_wait_loadcnt 0x1
	v_add_f64_e32 v[1:2], v[17:18], v[9:10]
	s_wait_loadcnt 0x0
	v_add_f64_e32 v[3:4], v[13:14], v[5:6]
	v_add_f64_e32 v[25:26], v[13:14], v[21:22]
	v_add_f64_e64 v[27:28], v[15:16], -v[7:8]
	v_add_f64_e64 v[30:31], v[19:20], -v[11:12]
	s_mov_b32 s8, 0x134454ff
	s_mov_b32 s9, 0xbfee6f0e
	;; [unrolled: 1-line block ×3, first 2 shown]
	s_wait_alu 0xfffe
	s_mov_b32 s10, s8
	v_add_f64_e64 v[34:35], v[5:6], -v[9:10]
	v_add_f64_e64 v[36:37], v[17:18], -v[13:14]
	;; [unrolled: 1-line block ×3, first 2 shown]
	v_fma_f64 v[1:2], v[1:2], -0.5, v[21:22]
	v_fma_f64 v[3:4], v[3:4], -0.5, v[21:22]
	v_add_f64_e64 v[21:22], v[13:14], -v[17:18]
	v_add_f64_e32 v[25:26], v[17:18], v[25:26]
	s_delay_alu instid0(VALU_DEP_4)
	v_fma_f64 v[40:41], v[27:28], s[8:9], v[1:2]
	v_fma_f64 v[1:2], v[27:28], s[10:11], v[1:2]
	;; [unrolled: 1-line block ×4, first 2 shown]
	s_mov_b32 s8, 0x4755a5e
	s_mov_b32 s9, 0xbfe2cf23
	s_mov_b32 s11, 0x3fe2cf23
	s_wait_alu 0xfffe
	s_mov_b32 s10, s8
	v_add_f64_e32 v[21:22], v[21:22], v[34:35]
	v_add_f64_e32 v[34:35], v[36:37], v[38:39]
	;; [unrolled: 1-line block ×3, first 2 shown]
	v_fma_f64 v[36:37], v[30:31], s[8:9], v[40:41]
	s_wait_alu 0xfffe
	v_fma_f64 v[30:31], v[30:31], s[10:11], v[1:2]
	v_fma_f64 v[38:39], v[27:28], s[8:9], v[42:43]
	;; [unrolled: 1-line block ×3, first 2 shown]
	s_mov_b32 s8, 0x372fe950
	s_mov_b32 s9, 0x3fd3c6ef
	v_add_f64_e32 v[1:2], v[5:6], v[25:26]
	s_wait_alu 0xfffe
	v_fma_f64 v[3:4], v[21:22], s[8:9], v[36:37]
	v_fma_f64 v[21:22], v[21:22], s[8:9], v[30:31]
	;; [unrolled: 1-line block ×4, first 2 shown]
	v_mul_u32_u24_e32 v36, 0x140, v33
	v_lshlrev_b32_e32 v34, 3, v32
	s_and_saveexec_b32 s1, vcc_lo
	s_cbranch_execz .LBB0_20
; %bb.19:
	s_delay_alu instid0(VALU_DEP_1)
	v_add3_u32 v30, 0, v36, v34
	ds_store_2addr_b64 v30, v[1:2], v[3:4] offset1:8
	ds_store_2addr_b64 v30, v[25:26], v[27:28] offset0:16 offset1:24
	ds_store_b64 v30, v[21:22] offset:256
.LBB0_20:
	s_wait_alu 0xfffe
	s_or_b32 exec_lo, exec_lo, s1
	v_lshlrev_b32_e32 v35, 6, v33
	global_wb scope:SCOPE_SE
	s_wait_dscnt 0x0
	s_barrier_signal -1
	s_barrier_wait -1
	global_inv scope:SCOPE_SE
	s_and_saveexec_b32 s1, vcc_lo
	s_cbranch_execz .LBB0_22
; %bb.21:
	v_add3_u32 v21, 0, v35, v34
	s_delay_alu instid0(VALU_DEP_1)
	v_add_nc_u32_e32 v22, 0x800, v21
	ds_load_2addr_b64 v[1:4], v21 offset1:160
	ds_load_2addr_b64 v[25:28], v22 offset0:64 offset1:224
	ds_load_b64 v[21:22], v21 offset:5120
.LBB0_22:
	s_wait_alu 0xfffe
	s_or_b32 exec_lo, exec_lo, s1
	v_add_f64_e32 v[30:31], v[19:20], v[11:12]
	v_add_f64_e32 v[37:38], v[15:16], v[7:8]
	;; [unrolled: 1-line block ×3, first 2 shown]
	v_add_f64_e64 v[5:6], v[13:14], -v[5:6]
	v_add_f64_e64 v[9:10], v[17:18], -v[9:10]
	s_mov_b32 s8, 0x134454ff
	s_mov_b32 s9, 0x3fee6f0e
	s_mov_b32 s11, 0xbfee6f0e
	s_wait_alu 0xfffe
	s_mov_b32 s10, s8
	global_wb scope:SCOPE_SE
	s_wait_dscnt 0x0
	s_barrier_signal -1
	s_barrier_wait -1
	global_inv scope:SCOPE_SE
	v_fma_f64 v[13:14], v[30:31], -0.5, v[23:24]
	v_fma_f64 v[17:18], v[37:38], -0.5, v[23:24]
	v_add_f64_e64 v[23:24], v[15:16], -v[19:20]
	v_add_f64_e64 v[30:31], v[7:8], -v[11:12]
	v_add_f64_e64 v[15:16], v[19:20], -v[15:16]
	v_add_f64_e64 v[37:38], v[11:12], -v[7:8]
	v_add_f64_e32 v[19:20], v[19:20], v[39:40]
	v_fma_f64 v[39:40], v[5:6], s[8:9], v[13:14]
	s_wait_alu 0xfffe
	v_fma_f64 v[13:14], v[5:6], s[10:11], v[13:14]
	v_fma_f64 v[41:42], v[9:10], s[10:11], v[17:18]
	;; [unrolled: 1-line block ×3, first 2 shown]
	s_mov_b32 s8, 0x4755a5e
	s_mov_b32 s9, 0x3fe2cf23
	;; [unrolled: 1-line block ×3, first 2 shown]
	s_wait_alu 0xfffe
	s_mov_b32 s10, s8
	v_add_f64_e32 v[23:24], v[23:24], v[30:31]
	v_add_f64_e32 v[15:16], v[15:16], v[37:38]
	;; [unrolled: 1-line block ×3, first 2 shown]
	v_fma_f64 v[19:20], v[9:10], s[8:9], v[39:40]
	s_wait_alu 0xfffe
	v_fma_f64 v[13:14], v[9:10], s[10:11], v[13:14]
	v_fma_f64 v[37:38], v[5:6], s[8:9], v[41:42]
	;; [unrolled: 1-line block ×3, first 2 shown]
	s_mov_b32 s8, 0x372fe950
	s_mov_b32 s9, 0x3fd3c6ef
	v_add_f64_e32 v[9:10], v[7:8], v[11:12]
	s_wait_alu 0xfffe
	v_fma_f64 v[11:12], v[23:24], s[8:9], v[19:20]
	v_fma_f64 v[30:31], v[23:24], s[8:9], v[13:14]
	;; [unrolled: 1-line block ×4, first 2 shown]
	s_and_saveexec_b32 s1, vcc_lo
	s_cbranch_execz .LBB0_24
; %bb.23:
	v_add3_u32 v13, 0, v36, v34
	ds_store_2addr_b64 v13, v[9:10], v[11:12] offset1:8
	ds_store_2addr_b64 v13, v[5:6], v[7:8] offset0:16 offset1:24
	ds_store_b64 v13, v[30:31] offset:256
.LBB0_24:
	s_wait_alu 0xfffe
	s_or_b32 exec_lo, exec_lo, s1
	global_wb scope:SCOPE_SE
	s_wait_dscnt 0x0
	s_barrier_signal -1
	s_barrier_wait -1
	global_inv scope:SCOPE_SE
	s_and_saveexec_b32 s1, vcc_lo
	s_cbranch_execz .LBB0_26
; %bb.25:
	v_add3_u32 v13, 0, v35, v34
	s_delay_alu instid0(VALU_DEP_1)
	v_add_nc_u32_e32 v5, 0x800, v13
	ds_load_2addr_b64 v[9:12], v13 offset1:160
	ds_load_2addr_b64 v[5:8], v5 offset0:64 offset1:224
	ds_load_b64 v[30:31], v13 offset:5120
.LBB0_26:
	s_wait_alu 0xfffe
	s_or_b32 exec_lo, exec_lo, s1
	v_mul_hi_u32 v13, 0x33333334, v33
	s_delay_alu instid0(VALU_DEP_1) | instskip(NEXT) | instid1(VALU_DEP_1)
	v_mul_u32_u24_e32 v13, 5, v13
	v_sub_nc_u32_e32 v36, v33, v13
	s_delay_alu instid0(VALU_DEP_1)
	v_lshlrev_b32_e32 v17, 6, v36
	s_clause 0x3
	global_load_b128 v[13:16], v17, s[16:17]
	global_load_b128 v[37:40], v17, s[16:17] offset:16
	global_load_b128 v[41:44], v17, s[16:17] offset:32
	;; [unrolled: 1-line block ×3, first 2 shown]
	global_wb scope:SCOPE_SE
	s_wait_loadcnt_dscnt 0x0
	s_barrier_signal -1
	s_barrier_wait -1
	global_inv scope:SCOPE_SE
	v_mul_f64_e32 v[17:18], v[11:12], v[15:16]
	v_mul_f64_e32 v[15:16], v[3:4], v[15:16]
	;; [unrolled: 1-line block ×8, first 2 shown]
	v_fma_f64 v[19:20], v[3:4], v[13:14], v[17:18]
	v_fma_f64 v[17:18], v[11:12], v[13:14], -v[15:16]
	v_fma_f64 v[23:24], v[25:26], v[37:38], v[23:24]
	v_fma_f64 v[15:16], v[5:6], v[37:38], -v[39:40]
	;; [unrolled: 2-line block ×4, first 2 shown]
	s_and_saveexec_b32 s1, vcc_lo
	s_cbranch_execz .LBB0_28
; %bb.27:
	s_delay_alu instid0(VALU_DEP_2) | instskip(SKIP_1) | instid1(VALU_DEP_3)
	v_add_f64_e32 v[3:4], v[19:20], v[21:22]
	v_add_f64_e32 v[5:6], v[23:24], v[25:26]
	v_add_f64_e64 v[7:8], v[17:18], -v[11:12]
	v_add_f64_e32 v[30:31], v[1:2], v[19:20]
	v_add_f64_e64 v[27:28], v[15:16], -v[13:14]
	s_mov_b32 s8, 0x134454ff
	s_mov_b32 s9, 0xbfee6f0e
	s_mov_b32 s11, 0x3fee6f0e
	s_wait_alu 0xfffe
	s_mov_b32 s10, s8
	v_add_f64_e64 v[37:38], v[25:26], -v[21:22]
	v_add_f64_e64 v[39:40], v[19:20], -v[23:24]
	v_add_f64_e64 v[41:42], v[21:22], -v[25:26]
	v_fma_f64 v[3:4], v[3:4], -0.5, v[1:2]
	v_fma_f64 v[1:2], v[5:6], -0.5, v[1:2]
	v_add_f64_e64 v[5:6], v[23:24], -v[19:20]
	v_add_f64_e32 v[30:31], v[30:31], v[23:24]
	s_delay_alu instid0(VALU_DEP_4) | instskip(NEXT) | instid1(VALU_DEP_4)
	v_fma_f64 v[43:44], v[27:28], s[8:9], v[3:4]
	v_fma_f64 v[45:46], v[7:8], s[8:9], v[1:2]
	s_wait_alu 0xfffe
	v_fma_f64 v[3:4], v[27:28], s[10:11], v[3:4]
	v_fma_f64 v[1:2], v[7:8], s[10:11], v[1:2]
	s_mov_b32 s8, 0x4755a5e
	s_mov_b32 s9, 0x3fe2cf23
	;; [unrolled: 1-line block ×3, first 2 shown]
	s_wait_alu 0xfffe
	s_mov_b32 s10, s8
	v_add_f64_e32 v[5:6], v[5:6], v[37:38]
	v_add_f64_e32 v[37:38], v[39:40], v[41:42]
	;; [unrolled: 1-line block ×3, first 2 shown]
	v_fma_f64 v[39:40], v[7:8], s[8:9], v[43:44]
	s_wait_alu 0xfffe
	v_fma_f64 v[41:42], v[27:28], s[10:11], v[45:46]
	v_fma_f64 v[3:4], v[7:8], s[10:11], v[3:4]
	;; [unrolled: 1-line block ×3, first 2 shown]
	s_mov_b32 s8, 0x372fe950
	s_mov_b32 s9, 0x3fd3c6ef
	v_add_f64_e32 v[7:8], v[30:31], v[21:22]
	s_wait_alu 0xfffe
	v_fma_f64 v[27:28], v[5:6], s[8:9], v[39:40]
	v_fma_f64 v[30:31], v[37:38], s[8:9], v[41:42]
	;; [unrolled: 1-line block ×4, first 2 shown]
	v_mul_lo_u16 v5, v33, 52
	s_delay_alu instid0(VALU_DEP_1) | instskip(NEXT) | instid1(VALU_DEP_1)
	v_lshrrev_b16 v5, 8, v5
	v_mul_lo_u16 v5, v5, 25
	s_delay_alu instid0(VALU_DEP_1) | instskip(NEXT) | instid1(VALU_DEP_1)
	v_and_b32_e32 v5, 0xffff, v5
	v_add_lshl_u32 v5, v36, v5, 6
	s_delay_alu instid0(VALU_DEP_1)
	v_add3_u32 v5, 0, v5, v34
	ds_store_2addr_b64 v5, v[7:8], v[30:31] offset1:40
	ds_store_2addr_b64 v5, v[3:4], v[27:28] offset0:80 offset1:120
	ds_store_b64 v5, v[1:2] offset:1280
.LBB0_28:
	s_wait_alu 0xfffe
	s_or_b32 exec_lo, exec_lo, s1
	v_add3_u32 v27, 0, v35, v34
	global_wb scope:SCOPE_SE
	s_wait_dscnt 0x0
	s_barrier_signal -1
	s_barrier_wait -1
	global_inv scope:SCOPE_SE
	v_add_nc_u32_e32 v5, 0xc00, v27
	ds_load_2addr_b64 v[1:4], v27 offset1:200
	ds_load_2addr_b64 v[5:8], v5 offset0:16 offset1:216
	global_wb scope:SCOPE_SE
	s_wait_dscnt 0x0
	s_barrier_signal -1
	s_barrier_wait -1
	global_inv scope:SCOPE_SE
	s_and_saveexec_b32 s1, vcc_lo
	s_cbranch_execz .LBB0_30
; %bb.29:
	v_add_f64_e32 v[30:31], v[15:16], v[13:14]
	v_add_f64_e32 v[37:38], v[17:18], v[11:12]
	;; [unrolled: 1-line block ×3, first 2 shown]
	v_add_f64_e64 v[19:20], v[19:20], -v[21:22]
	v_add_f64_e64 v[21:22], v[23:24], -v[25:26]
	s_mov_b32 s8, 0x134454ff
	s_mov_b32 s9, 0x3fee6f0e
	;; [unrolled: 1-line block ×3, first 2 shown]
	s_wait_alu 0xfffe
	s_mov_b32 s10, s8
	v_add_f64_e64 v[25:26], v[17:18], -v[15:16]
	v_add_f64_e64 v[17:18], v[15:16], -v[17:18]
	v_fma_f64 v[23:24], v[30:31], -0.5, v[9:10]
	v_fma_f64 v[9:10], v[37:38], -0.5, v[9:10]
	v_add_f64_e64 v[30:31], v[11:12], -v[13:14]
	v_add_f64_e32 v[15:16], v[39:40], v[15:16]
	v_add_f64_e64 v[37:38], v[13:14], -v[11:12]
	v_fma_f64 v[39:40], v[19:20], s[8:9], v[23:24]
	s_wait_alu 0xfffe
	v_fma_f64 v[41:42], v[21:22], s[10:11], v[9:10]
	v_fma_f64 v[9:10], v[21:22], s[8:9], v[9:10]
	v_fma_f64 v[23:24], v[19:20], s[10:11], v[23:24]
	s_mov_b32 s8, 0x4755a5e
	s_mov_b32 s9, 0x3fe2cf23
	;; [unrolled: 1-line block ×3, first 2 shown]
	s_wait_alu 0xfffe
	s_mov_b32 s10, s8
	v_add_f64_e32 v[25:26], v[25:26], v[30:31]
	v_add_f64_e32 v[13:14], v[15:16], v[13:14]
	;; [unrolled: 1-line block ×3, first 2 shown]
	v_fma_f64 v[15:16], v[21:22], s[8:9], v[39:40]
	v_fma_f64 v[30:31], v[19:20], s[8:9], v[41:42]
	s_wait_alu 0xfffe
	v_fma_f64 v[9:10], v[19:20], s[10:11], v[9:10]
	v_fma_f64 v[19:20], v[21:22], s[10:11], v[23:24]
	s_mov_b32 s8, 0x372fe950
	s_mov_b32 s9, 0x3fd3c6ef
	v_add_f64_e32 v[11:12], v[13:14], v[11:12]
	s_wait_alu 0xfffe
	v_fma_f64 v[13:14], v[25:26], s[8:9], v[15:16]
	v_fma_f64 v[15:16], v[17:18], s[8:9], v[30:31]
	;; [unrolled: 1-line block ×4, first 2 shown]
	v_mul_lo_u16 v19, v33, 52
	s_delay_alu instid0(VALU_DEP_1) | instskip(NEXT) | instid1(VALU_DEP_1)
	v_lshrrev_b16 v19, 8, v19
	v_mul_lo_u16 v19, v19, 25
	s_delay_alu instid0(VALU_DEP_1) | instskip(NEXT) | instid1(VALU_DEP_1)
	v_and_b32_e32 v19, 0xffff, v19
	v_add_lshl_u32 v19, v36, v19, 6
	s_delay_alu instid0(VALU_DEP_1)
	v_add3_u32 v19, 0, v19, v34
	ds_store_2addr_b64 v19, v[11:12], v[13:14] offset1:40
	ds_store_2addr_b64 v19, v[15:16], v[9:10] offset0:80 offset1:120
	ds_store_b64 v19, v[17:18] offset:1280
.LBB0_30:
	s_wait_alu 0xfffe
	s_or_b32 exec_lo, exec_lo, s1
	s_or_b32 s0, s6, s0
	global_wb scope:SCOPE_SE
	s_wait_dscnt 0x0
	s_barrier_signal -1
	s_barrier_wait -1
	global_inv scope:SCOPE_SE
	s_wait_alu 0xfffe
	s_and_saveexec_b32 s1, s0
	s_cbranch_execz .LBB0_32
; %bb.31:
	v_mul_hi_u32 v9, 0xa3d70a4, v33
	v_add_nc_u32_e32 v25, 0xc00, v27
	s_add_co_i32 s0, 0, 0x1900
	s_delay_alu instid0(VALU_DEP_2) | instskip(NEXT) | instid1(VALU_DEP_1)
	v_mul_u32_u24_e32 v9, 25, v9
	v_sub_nc_u32_e32 v69, v33, v9
	s_delay_alu instid0(VALU_DEP_1) | instskip(SKIP_2) | instid1(VALU_DEP_3)
	v_mul_u32_u24_e32 v9, 3, v69
	v_add_nc_u32_e32 v37, 0x4b, v69
	v_mul_lo_u32 v41, v69, v29
	v_lshlrev_b32_e32 v17, 4, v9
	s_delay_alu instid0(VALU_DEP_3)
	v_mul_lo_u32 v67, v37, v29
	v_mul_lo_u32 v29, 0xffffffe7, v29
	s_clause 0x2
	global_load_b128 v[9:12], v17, s[16:17] offset:336
	global_load_b128 v[13:16], v17, s[16:17] offset:320
	global_load_b128 v[17:20], v17, s[16:17] offset:352
	ds_load_2addr_b64 v[21:24], v27 offset1:200
	ds_load_2addr_b64 v[25:28], v25 offset0:16 offset1:216
	v_lshrrev_b32_e32 v38, 2, v41
	v_and_b32_e32 v37, 63, v41
	v_lshrrev_b32_e32 v40, 2, v67
	v_add_nc_u32_e32 v42, v67, v29
	v_and_b32_e32 v39, 63, v67
	v_and_b32_e32 v38, 0x3f0, v38
	v_lshl_add_u32 v37, v37, 4, 0
	v_and_b32_e32 v40, 0x3f0, v40
	v_and_b32_e32 v44, 63, v42
	v_add_nc_u32_e32 v68, v42, v29
	v_lshrrev_b32_e32 v29, 2, v42
	v_lshrrev_b32_e32 v43, 8, v42
	s_wait_alu 0xfffe
	v_add_nc_u32_e32 v38, s0, v38
	v_lshl_add_u32 v42, v44, 4, 0
	v_lshrrev_b32_e32 v44, 2, v68
	v_lshl_add_u32 v39, v39, 4, 0
	v_add_nc_u32_e32 v40, s0, v40
	v_lshrrev_b32_e32 v70, 8, v68
	s_wait_loadcnt 0x2
	v_mul_f64_e32 v[30:31], v[5:6], v[11:12]
	s_wait_dscnt 0x0
	v_mul_f64_e32 v[11:12], v[25:26], v[11:12]
	s_wait_loadcnt 0x1
	v_mul_f64_e32 v[33:34], v[23:24], v[15:16]
	v_mul_f64_e32 v[15:16], v[3:4], v[15:16]
	s_wait_loadcnt 0x0
	v_mul_f64_e32 v[35:36], v[27:28], v[19:20]
	v_mul_f64_e32 v[19:20], v[7:8], v[19:20]
	v_fma_f64 v[49:50], v[25:26], v[9:10], -v[30:31]
	v_fma_f64 v[55:56], v[5:6], v[9:10], v[11:12]
	v_fma_f64 v[51:52], v[3:4], v[13:14], v[33:34]
	v_fma_f64 v[57:58], v[23:24], v[13:14], -v[15:16]
	v_and_b32_e32 v15, 0x3f0, v29
	v_and_b32_e32 v16, 63, v68
	v_fma_f64 v[53:54], v[7:8], v[17:18], v[35:36]
	v_fma_f64 v[19:20], v[27:28], v[17:18], -v[19:20]
	v_and_b32_e32 v17, 0x3f0, v44
	ds_load_b128 v[3:6], v37 offset:6400
	ds_load_b128 v[7:10], v38 offset:1024
	;; [unrolled: 1-line block ×3, first 2 shown]
	v_add_nc_u32_e32 v27, s0, v15
	v_lshl_add_u32 v31, v16, 4, 0
	v_add_nc_u32_e32 v37, s0, v17
	ds_load_b128 v[15:18], v40 offset:1024
	ds_load_b128 v[23:26], v42 offset:6400
	;; [unrolled: 1-line block ×5, first 2 shown]
	v_lshrrev_b32_e32 v31, 8, v41
	v_and_b32_e32 v41, 0x3f0, v43
	s_delay_alu instid0(VALU_DEP_2) | instskip(NEXT) | instid1(VALU_DEP_2)
	v_and_b32_e32 v31, 0x3f0, v31
	v_add_nc_u32_e32 v41, s0, v41
	s_delay_alu instid0(VALU_DEP_2)
	v_add_nc_u32_e32 v31, s0, v31
	ds_load_b128 v[41:44], v41 offset:2048
	ds_load_b128 v[45:48], v31 offset:2048
	s_wait_dscnt 0x6
	v_mul_f64_e32 v[61:62], v[13:14], v[17:18]
	v_mul_f64_e32 v[59:60], v[5:6], v[9:10]
	s_wait_dscnt 0x4
	v_mul_f64_e32 v[63:64], v[25:26], v[29:30]
	v_lshrrev_b32_e32 v31, 8, v67
	s_wait_dscnt 0x2
	v_mul_f64_e32 v[65:66], v[35:36], v[39:40]
	v_mul_f64_e32 v[67:68], v[3:4], v[9:10]
	;; [unrolled: 1-line block ×4, first 2 shown]
	v_add_f64_e64 v[49:50], v[21:22], -v[49:50]
	v_add_f64_e64 v[55:56], v[1:2], -v[55:56]
	v_mul_f64_e32 v[39:40], v[33:34], v[39:40]
	v_add_f64_e64 v[53:54], v[51:52], -v[53:54]
	v_add_f64_e64 v[19:20], v[57:58], -v[19:20]
	v_fma_f64 v[61:62], v[11:12], v[15:16], -v[61:62]
	v_fma_f64 v[59:60], v[3:4], v[7:8], -v[59:60]
	;; [unrolled: 1-line block ×4, first 2 shown]
	v_fma_f64 v[5:6], v[5:6], v[7:8], v[67:68]
	v_fma_f64 v[7:8], v[13:14], v[15:16], v[17:18]
	v_fma_f64 v[13:14], v[25:26], v[27:28], v[29:30]
	v_fma_f64 v[21:22], v[21:22], 2.0, -v[49:50]
	v_fma_f64 v[63:64], v[1:2], 2.0, -v[55:56]
	v_and_b32_e32 v1, 0x3f0, v31
	v_and_b32_e32 v2, 0x3f0, v70
	v_fma_f64 v[15:16], v[35:36], v[37:38], v[39:40]
	v_mul_hi_u32 v31, 0x147ae15, v0
	v_fma_f64 v[51:52], v[51:52], 2.0, -v[53:54]
	v_add_nc_u32_e32 v1, s0, v1
	v_add_nc_u32_e32 v9, s0, v2
	v_fma_f64 v[57:58], v[57:58], 2.0, -v[19:20]
	ds_load_b128 v[1:4], v1 offset:2048
	ds_load_b128 v[9:12], v9 offset:2048
	v_add_f64_e32 v[19:20], v[55:56], v[19:20]
	v_add_f64_e64 v[39:40], v[49:50], -v[53:54]
	s_lshl_b64 s[0:1], s[4:5], 4
	s_wait_alu 0xfffe
	s_add_nc_u64 s[0:1], s[2:3], s[0:1]
	s_wait_dscnt 0x2
	v_mul_f64_e32 v[17:18], v[59:60], v[47:48]
	s_wait_dscnt 0x1
	v_mul_f64_e32 v[25:26], v[61:62], v[3:4]
	v_mul_f64_e32 v[27:28], v[23:24], v[43:44]
	s_wait_dscnt 0x0
	v_mul_f64_e32 v[29:30], v[33:34], v[11:12]
	v_mul_f64_e32 v[47:48], v[5:6], v[47:48]
	;; [unrolled: 1-line block ×5, first 2 shown]
	v_add_f64_e64 v[35:36], v[63:64], -v[51:52]
	v_add_f64_e64 v[37:38], v[21:22], -v[57:58]
	v_fma_f64 v[5:6], v[45:46], v[5:6], v[17:18]
	v_fma_f64 v[7:8], v[1:2], v[7:8], v[25:26]
	;; [unrolled: 1-line block ×4, first 2 shown]
	v_fma_f64 v[17:18], v[55:56], 2.0, -v[19:20]
	v_fma_f64 v[27:28], v[49:50], 2.0, -v[39:40]
	v_fma_f64 v[0:1], v[1:2], v[61:62], -v[3:4]
	v_fma_f64 v[45:46], v[45:46], v[59:60], -v[47:48]
	;; [unrolled: 1-line block ×3, first 2 shown]
	v_mad_co_u64_u32 v[29:30], null, s14, v32, 0
	v_fma_f64 v[33:34], v[9:10], v[33:34], -v[11:12]
	v_fma_f64 v[25:26], v[63:64], 2.0, -v[35:36]
	v_fma_f64 v[21:22], v[21:22], 2.0, -v[37:38]
	v_mul_f64_e32 v[2:3], v[19:20], v[7:8]
	v_mul_f64_e32 v[7:8], v[39:40], v[7:8]
	;; [unrolled: 1-line block ×6, first 2 shown]
	v_mad_u32_u24 v15, 0x64, v31, v69
	s_delay_alu instid0(VALU_DEP_1)
	v_add_nc_u32_e32 v58, 50, v15
	v_mul_f64_e32 v[41:42], v[25:26], v[5:6]
	v_add_nc_u32_e32 v59, 0x4b, v15
	v_mul_f64_e32 v[4:5], v[21:22], v[5:6]
	v_mov_b32_e32 v6, v30
	v_mad_co_u64_u32 v[51:52], null, s12, v58, 0
	s_delay_alu instid0(VALU_DEP_4) | instskip(NEXT) | instid1(VALU_DEP_1)
	v_mad_co_u64_u32 v[53:54], null, s12, v59, 0
	v_mov_b32_e32 v16, v54
	v_fma_f64 v[2:3], v[39:40], v[0:1], -v[2:3]
	v_mad_co_u64_u32 v[13:14], null, s15, v32, v[6:7]
	v_add_nc_u32_e32 v14, 25, v15
	v_mad_co_u64_u32 v[31:32], null, s12, v15, 0
	v_fma_f64 v[0:1], v[19:20], v[0:1], v[7:8]
	s_delay_alu instid0(VALU_DEP_3) | instskip(SKIP_1) | instid1(VALU_DEP_2)
	v_mad_co_u64_u32 v[49:50], null, s12, v14, 0
	v_mov_b32_e32 v30, v13
	v_dual_mov_b32 v6, v32 :: v_dual_mov_b32 v13, v50
	s_delay_alu instid0(VALU_DEP_1) | instskip(SKIP_1) | instid1(VALU_DEP_3)
	v_mad_co_u64_u32 v[55:56], null, s13, v15, v[6:7]
	v_mov_b32_e32 v6, v52
	v_mad_co_u64_u32 v[56:57], null, s13, v14, v[13:14]
	v_fma_f64 v[14:15], v[21:22], v[45:46], -v[41:42]
	s_delay_alu instid0(VALU_DEP_3)
	v_mad_co_u64_u32 v[57:58], null, s13, v58, v[6:7]
	v_fma_f64 v[6:7], v[37:38], v[23:24], -v[9:10]
	v_fma_f64 v[10:11], v[27:28], v[33:34], -v[11:12]
	v_fma_f64 v[12:13], v[25:26], v[45:46], v[4:5]
	v_fma_f64 v[8:9], v[17:18], v[33:34], v[43:44]
	;; [unrolled: 1-line block ×3, first 2 shown]
	v_mad_co_u64_u32 v[16:17], null, s13, v59, v[16:17]
	v_mov_b32_e32 v32, v55
	v_lshlrev_b64_e32 v[17:18], 4, v[29:30]
	v_mov_b32_e32 v50, v56
	v_mov_b32_e32 v52, v57
	s_delay_alu instid0(VALU_DEP_4)
	v_lshlrev_b64_e32 v[19:20], 4, v[31:32]
	v_mov_b32_e32 v54, v16
	s_wait_alu 0xfffe
	v_add_co_u32 v25, vcc_lo, s0, v17
	v_add_co_ci_u32_e32 v26, vcc_lo, s1, v18, vcc_lo
	v_lshlrev_b64_e32 v[16:17], 4, v[49:50]
	v_lshlrev_b64_e32 v[21:22], 4, v[51:52]
	s_delay_alu instid0(VALU_DEP_4)
	v_add_co_u32 v18, vcc_lo, v25, v19
	s_wait_alu 0xfffd
	v_add_co_ci_u32_e32 v19, vcc_lo, v26, v20, vcc_lo
	v_lshlrev_b64_e32 v[23:24], 4, v[53:54]
	v_add_co_u32 v16, vcc_lo, v25, v16
	s_wait_alu 0xfffd
	v_add_co_ci_u32_e32 v17, vcc_lo, v26, v17, vcc_lo
	v_add_co_u32 v20, vcc_lo, v25, v21
	s_wait_alu 0xfffd
	v_add_co_ci_u32_e32 v21, vcc_lo, v26, v22, vcc_lo
	;; [unrolled: 3-line block ×3, first 2 shown]
	s_clause 0x3
	global_store_b128 v[18:19], v[12:15], off
	global_store_b128 v[16:17], v[8:11], off
	;; [unrolled: 1-line block ×4, first 2 shown]
.LBB0_32:
	s_nop 0
	s_sendmsg sendmsg(MSG_DEALLOC_VGPRS)
	s_endpgm
	.section	.rodata,"a",@progbits
	.p2align	6, 0x0
	.amdhsa_kernel fft_rtc_back_len100_factors_5_5_4_wgs_200_tpt_25_halfLds_dp_ip_CI_sbcc_twdbase6_3step_dirReg
		.amdhsa_group_segment_fixed_size 0
		.amdhsa_private_segment_fixed_size 0
		.amdhsa_kernarg_size 96
		.amdhsa_user_sgpr_count 2
		.amdhsa_user_sgpr_dispatch_ptr 0
		.amdhsa_user_sgpr_queue_ptr 0
		.amdhsa_user_sgpr_kernarg_segment_ptr 1
		.amdhsa_user_sgpr_dispatch_id 0
		.amdhsa_user_sgpr_private_segment_size 0
		.amdhsa_wavefront_size32 1
		.amdhsa_uses_dynamic_stack 0
		.amdhsa_enable_private_segment 0
		.amdhsa_system_sgpr_workgroup_id_x 1
		.amdhsa_system_sgpr_workgroup_id_y 0
		.amdhsa_system_sgpr_workgroup_id_z 0
		.amdhsa_system_sgpr_workgroup_info 0
		.amdhsa_system_vgpr_workitem_id 0
		.amdhsa_next_free_vgpr 71
		.amdhsa_next_free_sgpr 49
		.amdhsa_reserve_vcc 1
		.amdhsa_float_round_mode_32 0
		.amdhsa_float_round_mode_16_64 0
		.amdhsa_float_denorm_mode_32 3
		.amdhsa_float_denorm_mode_16_64 3
		.amdhsa_fp16_overflow 0
		.amdhsa_workgroup_processor_mode 1
		.amdhsa_memory_ordered 1
		.amdhsa_forward_progress 0
		.amdhsa_round_robin_scheduling 0
		.amdhsa_exception_fp_ieee_invalid_op 0
		.amdhsa_exception_fp_denorm_src 0
		.amdhsa_exception_fp_ieee_div_zero 0
		.amdhsa_exception_fp_ieee_overflow 0
		.amdhsa_exception_fp_ieee_underflow 0
		.amdhsa_exception_fp_ieee_inexact 0
		.amdhsa_exception_int_div_zero 0
	.end_amdhsa_kernel
	.text
.Lfunc_end0:
	.size	fft_rtc_back_len100_factors_5_5_4_wgs_200_tpt_25_halfLds_dp_ip_CI_sbcc_twdbase6_3step_dirReg, .Lfunc_end0-fft_rtc_back_len100_factors_5_5_4_wgs_200_tpt_25_halfLds_dp_ip_CI_sbcc_twdbase6_3step_dirReg
                                        ; -- End function
	.section	.AMDGPU.csdata,"",@progbits
; Kernel info:
; codeLenInByte = 5588
; NumSgprs: 51
; NumVgprs: 71
; ScratchSize: 0
; MemoryBound: 1
; FloatMode: 240
; IeeeMode: 1
; LDSByteSize: 0 bytes/workgroup (compile time only)
; SGPRBlocks: 6
; VGPRBlocks: 8
; NumSGPRsForWavesPerEU: 51
; NumVGPRsForWavesPerEU: 71
; Occupancy: 16
; WaveLimiterHint : 1
; COMPUTE_PGM_RSRC2:SCRATCH_EN: 0
; COMPUTE_PGM_RSRC2:USER_SGPR: 2
; COMPUTE_PGM_RSRC2:TRAP_HANDLER: 0
; COMPUTE_PGM_RSRC2:TGID_X_EN: 1
; COMPUTE_PGM_RSRC2:TGID_Y_EN: 0
; COMPUTE_PGM_RSRC2:TGID_Z_EN: 0
; COMPUTE_PGM_RSRC2:TIDIG_COMP_CNT: 0
	.text
	.p2alignl 7, 3214868480
	.fill 96, 4, 3214868480
	.type	__hip_cuid_a65b546ff3ec6972,@object ; @__hip_cuid_a65b546ff3ec6972
	.section	.bss,"aw",@nobits
	.globl	__hip_cuid_a65b546ff3ec6972
__hip_cuid_a65b546ff3ec6972:
	.byte	0                               ; 0x0
	.size	__hip_cuid_a65b546ff3ec6972, 1

	.ident	"AMD clang version 19.0.0git (https://github.com/RadeonOpenCompute/llvm-project roc-6.4.0 25133 c7fe45cf4b819c5991fe208aaa96edf142730f1d)"
	.section	".note.GNU-stack","",@progbits
	.addrsig
	.addrsig_sym __hip_cuid_a65b546ff3ec6972
	.amdgpu_metadata
---
amdhsa.kernels:
  - .args:
      - .actual_access:  read_only
        .address_space:  global
        .offset:         0
        .size:           8
        .value_kind:     global_buffer
      - .address_space:  global
        .offset:         8
        .size:           8
        .value_kind:     global_buffer
      - .offset:         16
        .size:           8
        .value_kind:     by_value
      - .actual_access:  read_only
        .address_space:  global
        .offset:         24
        .size:           8
        .value_kind:     global_buffer
      - .actual_access:  read_only
        .address_space:  global
        .offset:         32
        .size:           8
        .value_kind:     global_buffer
      - .offset:         40
        .size:           8
        .value_kind:     by_value
      - .actual_access:  read_only
        .address_space:  global
        .offset:         48
        .size:           8
        .value_kind:     global_buffer
      - .actual_access:  read_only
        .address_space:  global
        .offset:         56
        .size:           8
        .value_kind:     global_buffer
      - .offset:         64
        .size:           4
        .value_kind:     by_value
      - .actual_access:  read_only
        .address_space:  global
        .offset:         72
        .size:           8
        .value_kind:     global_buffer
      - .actual_access:  read_only
        .address_space:  global
        .offset:         80
        .size:           8
        .value_kind:     global_buffer
      - .address_space:  global
        .offset:         88
        .size:           8
        .value_kind:     global_buffer
    .group_segment_fixed_size: 0
    .kernarg_segment_align: 8
    .kernarg_segment_size: 96
    .language:       OpenCL C
    .language_version:
      - 2
      - 0
    .max_flat_workgroup_size: 200
    .name:           fft_rtc_back_len100_factors_5_5_4_wgs_200_tpt_25_halfLds_dp_ip_CI_sbcc_twdbase6_3step_dirReg
    .private_segment_fixed_size: 0
    .sgpr_count:     51
    .sgpr_spill_count: 0
    .symbol:         fft_rtc_back_len100_factors_5_5_4_wgs_200_tpt_25_halfLds_dp_ip_CI_sbcc_twdbase6_3step_dirReg.kd
    .uniform_work_group_size: 1
    .uses_dynamic_stack: false
    .vgpr_count:     71
    .vgpr_spill_count: 0
    .wavefront_size: 32
    .workgroup_processor_mode: 1
amdhsa.target:   amdgcn-amd-amdhsa--gfx1201
amdhsa.version:
  - 1
  - 2
...

	.end_amdgpu_metadata
